;; amdgpu-corpus repo=ROCm/rocFFT kind=compiled arch=gfx950 opt=O3
	.text
	.amdgcn_target "amdgcn-amd-amdhsa--gfx950"
	.amdhsa_code_object_version 6
	.protected	bluestein_single_fwd_len525_dim1_sp_op_CI_CI ; -- Begin function bluestein_single_fwd_len525_dim1_sp_op_CI_CI
	.globl	bluestein_single_fwd_len525_dim1_sp_op_CI_CI
	.p2align	8
	.type	bluestein_single_fwd_len525_dim1_sp_op_CI_CI,@function
bluestein_single_fwd_len525_dim1_sp_op_CI_CI: ; @bluestein_single_fwd_len525_dim1_sp_op_CI_CI
; %bb.0:
	s_load_dwordx4 s[12:15], s[0:1], 0x28
	v_mul_u32_u24_e32 v1, 0x271, v0
	v_add_u32_sdwa v36, s2, v1 dst_sel:DWORD dst_unused:UNUSED_PAD src0_sel:DWORD src1_sel:WORD_1
	v_mov_b32_e32 v37, 0
	s_waitcnt lgkmcnt(0)
	v_cmp_gt_u64_e32 vcc, s[12:13], v[36:37]
	s_and_saveexec_b64 s[2:3], vcc
	s_cbranch_execz .LBB0_23
; %bb.1:
	s_load_dwordx2 s[12:13], s[0:1], 0x0
	s_load_dwordx2 s[16:17], s[0:1], 0x38
	s_movk_i32 s2, 0x69
	v_mul_lo_u16_sdwa v1, v1, s2 dst_sel:DWORD dst_unused:UNUSED_PAD src0_sel:WORD_1 src1_sel:DWORD
	v_sub_u16_e32 v37, v0, v1
	s_movk_i32 s2, 0x4b
	v_cmp_gt_u16_e64 s[6:7], s2, v37
	v_lshlrev_b32_e32 v38, 3, v37
	s_and_saveexec_b64 s[2:3], s[6:7]
	s_cbranch_execz .LBB0_3
; %bb.2:
	s_load_dwordx2 s[4:5], s[0:1], 0x18
	v_mov_b32_e32 v0, s14
	v_mov_b32_e32 v1, s15
	;; [unrolled: 1-line block ×3, first 2 shown]
	v_add_u32_e32 v30, 0x800, v38
	s_waitcnt lgkmcnt(0)
	s_load_dwordx4 s[8:11], s[4:5], 0x0
	s_waitcnt lgkmcnt(0)
	v_mad_u64_u32 v[2:3], s[4:5], s10, v36, 0
	v_mad_u64_u32 v[4:5], s[4:5], s8, v37, 0
	v_mov_b32_e32 v6, v3
	v_mov_b32_e32 v8, v5
	v_mad_u64_u32 v[6:7], s[4:5], s11, v36, v[6:7]
	v_mov_b32_e32 v3, v6
	v_mad_u64_u32 v[6:7], s[4:5], s9, v37, v[8:9]
	v_mov_b32_e32 v5, v6
	v_lshl_add_u64 v[0:1], v[2:3], 3, v[0:1]
	v_lshl_add_u64 v[0:1], v[4:5], 3, v[0:1]
	global_load_dwordx2 v[2:3], v[0:1], off
	v_mad_u64_u32 v[0:1], s[4:5], s8, v26, v[0:1]
	s_mulk_i32 s9, 0x258
	v_add_u32_e32 v1, s9, v1
	v_mad_u64_u32 v[8:9], s[4:5], s8, v26, v[0:1]
	v_add_u32_e32 v9, s9, v9
	global_load_dwordx2 v[4:5], v38, s[12:13]
	global_load_dwordx2 v[6:7], v38, s[12:13] offset:600
	global_load_dwordx2 v[10:11], v[8:9], off
	v_mad_u64_u32 v[8:9], s[4:5], s8, v26, v[8:9]
	global_load_dwordx2 v[0:1], v[0:1], off
	v_add_u32_e32 v9, s9, v9
	global_load_dwordx2 v[12:13], v38, s[12:13] offset:1200
	global_load_dwordx2 v[14:15], v38, s[12:13] offset:1800
	global_load_dwordx2 v[16:17], v[8:9], off
	v_mad_u64_u32 v[8:9], s[4:5], s8, v26, v[8:9]
	v_add_u32_e32 v9, s9, v9
	global_load_dwordx2 v[18:19], v[8:9], off
	global_load_dwordx2 v[20:21], v38, s[12:13] offset:2400
	v_mad_u64_u32 v[8:9], s[4:5], s8, v26, v[8:9]
	v_add_u32_e32 v9, s9, v9
	global_load_dwordx2 v[22:23], v[8:9], off
	global_load_dwordx2 v[24:25], v38, s[12:13] offset:3000
	v_mad_u64_u32 v[8:9], s[4:5], s8, v26, v[8:9]
	v_add_u32_e32 v9, s9, v9
	global_load_dwordx2 v[26:27], v38, s[12:13] offset:3600
	global_load_dwordx2 v[28:29], v[8:9], off
	s_waitcnt vmcnt(12)
	v_mul_f32_e32 v8, v3, v5
	v_mul_f32_e32 v5, v2, v5
	v_fmac_f32_e32 v8, v2, v4
	v_fma_f32 v9, v3, v4, -v5
	s_waitcnt vmcnt(9)
	v_mul_f32_e32 v2, v1, v7
	v_mul_f32_e32 v3, v0, v7
	v_fmac_f32_e32 v2, v0, v6
	v_fma_f32 v3, v1, v6, -v3
	ds_write2_b64 v38, v[8:9], v[2:3] offset1:75
	s_waitcnt vmcnt(8)
	v_mul_f32_e32 v0, v11, v13
	v_mul_f32_e32 v1, v10, v13
	s_waitcnt vmcnt(6)
	v_mul_f32_e32 v2, v17, v15
	v_mul_f32_e32 v3, v16, v15
	v_fmac_f32_e32 v0, v10, v12
	v_fma_f32 v1, v11, v12, -v1
	v_fmac_f32_e32 v2, v16, v14
	v_fma_f32 v3, v17, v14, -v3
	ds_write2_b64 v38, v[0:1], v[2:3] offset0:150 offset1:225
	s_waitcnt vmcnt(4)
	v_mul_f32_e32 v0, v19, v21
	v_mul_f32_e32 v1, v18, v21
	s_waitcnt vmcnt(2)
	v_mul_f32_e32 v2, v23, v25
	v_mul_f32_e32 v3, v22, v25
	v_fmac_f32_e32 v0, v18, v20
	v_fma_f32 v1, v19, v20, -v1
	v_fmac_f32_e32 v2, v22, v24
	v_fma_f32 v3, v23, v24, -v3
	ds_write2_b64 v30, v[0:1], v[2:3] offset0:44 offset1:119
	s_waitcnt vmcnt(0)
	v_mul_f32_e32 v0, v29, v27
	v_mul_f32_e32 v1, v28, v27
	v_fmac_f32_e32 v0, v28, v26
	v_fma_f32 v1, v29, v26, -v1
	ds_write_b64 v38, v[0:1] offset:3600
.LBB0_3:
	s_or_b64 exec, exec, s[2:3]
	v_mov_b64_e32 v[2:3], 0
	v_mov_b64_e32 v[4:5], v[2:3]
	;; [unrolled: 1-line block ×4, first 2 shown]
	s_waitcnt lgkmcnt(0)
	s_barrier
	s_waitcnt lgkmcnt(0)
                                        ; implicit-def: $vgpr12
	s_and_saveexec_b64 s[2:3], s[6:7]
	s_cbranch_execz .LBB0_5
; %bb.4:
	v_add_u32_e32 v8, 0x800, v38
	ds_read2_b64 v[0:3], v38 offset1:75
	ds_read2_b64 v[4:7], v38 offset0:150 offset1:225
	ds_read2_b64 v[8:11], v8 offset0:44 offset1:119
	ds_read_b64 v[12:13], v38 offset:3600
.LBB0_5:
	s_or_b64 exec, exec, s[2:3]
	s_waitcnt lgkmcnt(0)
	v_pk_add_f32 v[14:15], v[12:13], v[2:3]
	v_pk_add_f32 v[2:3], v[2:3], v[12:13] neg_lo:[0,1] neg_hi:[0,1]
	v_pk_add_f32 v[12:13], v[10:11], v[4:5]
	v_pk_add_f32 v[4:5], v[4:5], v[10:11] neg_lo:[0,1] neg_hi:[0,1]
	;; [unrolled: 2-line block ×5, first 2 shown]
	v_pk_add_f32 v[20:21], v[6:7], v[4:5] op_sel:[1,1] op_sel_hi:[0,0] neg_lo:[0,1] neg_hi:[0,1]
	v_pk_add_f32 v[0:1], v[8:9], v[0:1]
	s_mov_b32 s2, 0xbf955555
	s_mov_b32 s4, 0x3d64c772
	;; [unrolled: 1-line block ×3, first 2 shown]
	v_pk_add_f32 v[18:19], v[4:5], v[6:7] op_sel:[1,1] op_sel_hi:[0,0]
	v_pk_add_f32 v[4:5], v[4:5], v[2:3] op_sel:[1,1] op_sel_hi:[0,0] neg_lo:[0,1] neg_hi:[0,1]
	v_pk_mul_f32 v[12:13], v[12:13], s[4:5] op_sel_hi:[1,0]
	s_mov_b32 s4, 0x3f3bfb3b
	v_pk_mul_f32 v[20:21], v[20:21], s[10:11] op_sel_hi:[1,0]
	s_mov_b32 s10, 0x3f5ff5aa
	v_pk_fma_f32 v[8:9], v[8:9], s[2:3], v[0:1] op_sel_hi:[1,0,1]
	v_pk_add_f32 v[10:11], v[14:15], v[10:11] neg_lo:[0,1] neg_hi:[0,1]
	s_mov_b32 s2, 0x3f4a47b2
	v_pk_add_f32 v[18:19], v[2:3], v[18:19] op_sel:[1,0] op_sel_hi:[0,1]
	s_mov_b32 s8, 0x3ee1c552
	v_pk_mul_f32 v[22:23], v[4:5], s[10:11] op_sel_hi:[1,0]
	v_pk_fma_f32 v[24:25], v[16:17], s[4:5], v[12:13] op_sel_hi:[1,0,1] neg_lo:[0,0,1] neg_hi:[0,0,1]
	v_pk_fma_f32 v[4:5], v[4:5], s[10:11], v[20:21] op_sel_hi:[1,0,1] neg_lo:[0,0,1] neg_hi:[0,0,1]
	v_pk_add_f32 v[2:3], v[2:3], v[6:7] op_sel:[1,1] op_sel_hi:[0,0] neg_lo:[0,1] neg_hi:[0,1]
	v_pk_mul_f32 v[6:7], v[10:11], s[2:3] op_sel_hi:[1,0]
	s_mov_b32 s10, 0x3eae86e6
	v_pk_add_f32 v[24:25], v[24:25], v[8:9]
	v_pk_fma_f32 v[10:11], v[10:11], s[2:3], v[12:13] op_sel_hi:[1,0,1]
	v_pk_fma_f32 v[12:13], v[2:3], s[10:11], v[20:21] op_sel_hi:[1,0,1]
	;; [unrolled: 1-line block ×3, first 2 shown]
	v_pk_fma_f32 v[4:5], v[16:17], s[4:5], v[6:7] op_sel_hi:[1,0,1] neg_lo:[1,0,1] neg_hi:[1,0,1]
	v_pk_fma_f32 v[6:7], v[2:3], s[10:11], v[22:23] op_sel_hi:[1,0,1] neg_lo:[1,0,1] neg_hi:[1,0,1]
	v_pk_fma_f32 v[20:21], v[18:19], s[8:9], v[12:13] op_sel_hi:[1,0,1]
	v_pk_add_f32 v[2:3], v[4:5], v[8:9]
	v_pk_fma_f32 v[4:5], v[18:19], s[8:9], v[6:7] op_sel_hi:[1,0,1]
	v_pk_add_f32 v[12:13], v[24:25], v[26:27] neg_lo:[0,1] neg_hi:[0,1]
	v_pk_add_f32 v[6:7], v[24:25], v[26:27]
	v_pk_add_f32 v[10:11], v[10:11], v[8:9]
	v_mov_b32_e32 v13, v7
	v_mov_b32_e32 v6, v25
	;; [unrolled: 1-line block ×5, first 2 shown]
	v_pk_add_f32 v[14:15], v[6:7], v[8:9] neg_lo:[0,1] neg_hi:[0,1]
	v_mov_b32_e32 v6, v5
	v_mov_b32_e32 v7, v24
	;; [unrolled: 1-line block ×4, first 2 shown]
	v_pk_add_f32 v[16:17], v[6:7], v[8:9]
	v_pk_add_f32 v[6:7], v[10:11], v[20:21] neg_lo:[0,1] neg_hi:[0,1]
	v_pk_add_f32 v[8:9], v[10:11], v[20:21]
	v_mov_b32_e32 v40, v6
	v_mov_b32_e32 v41, v9
	v_mul_lo_u16_e32 v52, 7, v37
	s_barrier
	s_and_saveexec_b64 s[2:3], s[6:7]
	s_cbranch_execz .LBB0_7
; %bb.6:
	v_pk_add_f32 v[10:11], v[2:3], v[4:5]
	v_pk_add_f32 v[2:3], v[2:3], v[4:5] neg_lo:[0,1] neg_hi:[0,1]
	v_lshlrev_b32_e32 v4, 3, v52
	v_mov_b32_e32 v9, v7
	ds_write2_b64 v4, v[0:1], v[8:9] offset1:1
	v_mov_b32_e32 v11, v3
	v_mov_b32_e32 v0, v17
	;; [unrolled: 1-line block ×5, first 2 shown]
	ds_write2_b64 v4, v[10:11], v[12:13] offset0:2 offset1:3
	ds_write2_b64 v4, v[0:1], v[2:3] offset0:4 offset1:5
	ds_write_b64 v4, v[40:41] offset:48
.LBB0_7:
	s_or_b64 exec, exec, s[2:3]
	s_load_dwordx2 s[8:9], s[0:1], 0x20
	s_load_dwordx2 s[14:15], s[0:1], 0x8
	s_waitcnt lgkmcnt(0)
	s_barrier
	ds_read2_b64 v[8:11], v38 offset1:175
	ds_read_b64 v[18:19], v38 offset:2800
	s_movk_i32 s0, 0x46
	v_cmp_gt_u16_e64 s[2:3], s0, v37
	s_movk_i32 s0, 0x45
	v_cmp_lt_u16_e64 s[4:5], s0, v37
	s_and_saveexec_b64 s[0:1], s[4:5]
	s_xor_b64 s[0:1], exec, s[0:1]
	s_andn2_saveexec_b64 s[0:1], s[0:1]
	s_cbranch_execz .LBB0_9
; %bb.8:
	v_add_u32_e32 v0, 0x200, v38
	ds_read_b64 v[4:5], v38 offset:3640
	ds_read2_b64 v[0:3], v0 offset0:41 offset1:216
	s_waitcnt lgkmcnt(1)
	v_mov_b32_e32 v16, v5
	v_mov_b32_e32 v15, v4
	s_waitcnt lgkmcnt(0)
	v_mov_b32_e32 v17, v2
	v_mov_b32_e32 v14, v3
	;; [unrolled: 1-line block ×4, first 2 shown]
.LBB0_9:
	s_or_b64 exec, exec, s[0:1]
	v_mov_b32_e32 v0, 37
	v_mul_lo_u16_sdwa v1, v37, v0 dst_sel:DWORD dst_unused:UNUSED_PAD src0_sel:BYTE_0 src1_sel:DWORD
	v_sub_u16_sdwa v2, v37, v1 dst_sel:DWORD dst_unused:UNUSED_PAD src0_sel:DWORD src1_sel:BYTE_1
	v_lshrrev_b16_e32 v2, 1, v2
	v_and_b32_e32 v2, 0x7f, v2
	v_add_u16_sdwa v1, v2, v1 dst_sel:DWORD dst_unused:UNUSED_PAD src0_sel:DWORD src1_sel:BYTE_1
	v_lshrrev_b16_e32 v20, 2, v1
	v_mul_lo_u16_e32 v1, 7, v20
	v_sub_u16_e32 v1, v37, v1
	v_and_b32_e32 v21, 0xff, v1
	v_add_u16_e32 v1, 0x69, v37
	v_mul_lo_u16_sdwa v0, v1, v0 dst_sel:DWORD dst_unused:UNUSED_PAD src0_sel:BYTE_0 src1_sel:DWORD
	v_sub_u16_sdwa v2, v1, v0 dst_sel:DWORD dst_unused:UNUSED_PAD src0_sel:DWORD src1_sel:BYTE_1
	v_lshrrev_b16_e32 v2, 1, v2
	v_and_b32_e32 v2, 0x7f, v2
	v_add_u16_sdwa v0, v2, v0 dst_sel:DWORD dst_unused:UNUSED_PAD src0_sel:DWORD src1_sel:BYTE_1
	v_lshrrev_b16_e32 v30, 2, v0
	v_mul_lo_u16_e32 v0, 7, v30
	v_sub_u16_e32 v0, v1, v0
	v_and_b32_e32 v60, 0xff, v0
	v_lshlrev_b32_e32 v0, 4, v60
	v_lshlrev_b32_e32 v4, 4, v21
	global_load_dwordx4 v[0:3], v0, s[14:15]
	v_mul_u32_u24_e32 v20, 21, v20
	global_load_dwordx4 v[4:7], v4, s[14:15]
	v_add_lshl_u32 v61, v20, v21, 3
	s_load_dwordx4 s[8:11], s[8:9], 0x0
	s_mov_b32 s0, 0x3f5db3d7
	s_movk_i32 s19, 0x69
	v_mul_u32_u24_e32 v62, 21, v30
	s_waitcnt lgkmcnt(0)
	s_barrier
	s_waitcnt vmcnt(1)
	v_pk_mul_f32 v[22:23], v[14:15], v[0:1] op_sel_hi:[0,1]
	v_pk_mul_f32 v[24:25], v[16:17], v[2:3] op_sel_hi:[0,1]
	s_waitcnt vmcnt(0)
	v_pk_mul_f32 v[26:27], v[10:11], v[4:5] op_sel:[0,1]
	v_mov_b32_e32 v28, v7
	v_pk_fma_f32 v[20:21], v[16:17], v[0:1], v[22:23] op_sel:[1,0,1] op_sel_hi:[1,1,0] neg_lo:[0,0,1] neg_hi:[0,0,1]
	v_pk_fma_f32 v[22:23], v[16:17], v[0:1], v[22:23] op_sel:[1,0,1] op_sel_hi:[1,1,0]
	v_pk_fma_f32 v[16:17], v[14:15], v[2:3], v[24:25] op_sel:[1,0,1] op_sel_hi:[1,1,0] neg_lo:[0,0,1] neg_hi:[0,0,1]
	v_pk_fma_f32 v[14:15], v[14:15], v[2:3], v[24:25] op_sel:[1,0,1] op_sel_hi:[1,1,0]
	;; [unrolled: 2-line block ×3, first 2 shown]
	v_pk_mul_f32 v[26:27], v[18:19], v[28:29] op_sel_hi:[1,0]
	v_mov_b32_e32 v21, v23
	v_mov_b32_e32 v17, v15
	;; [unrolled: 1-line block ×3, first 2 shown]
	v_pk_fma_f32 v[10:11], v[18:19], v[6:7], v[26:27] op_sel:[0,0,1] op_sel_hi:[1,1,0] neg_lo:[0,0,1] neg_hi:[0,0,1]
	v_pk_fma_f32 v[14:15], v[18:19], v[6:7], v[26:27] op_sel:[0,0,1] op_sel_hi:[1,0,0]
	v_pk_add_f32 v[18:19], v[20:21], v[16:17]
	v_pk_add_f32 v[22:23], v[20:21], v[16:17] neg_lo:[0,1] neg_hi:[0,1]
	v_mov_b32_e32 v11, v15
	v_pk_add_f32 v[14:15], v[8:9], v[24:25]
	v_pk_fma_f32 v[18:19], v[18:19], 0.5, v[12:13] op_sel_hi:[1,0,1] neg_lo:[1,0,0] neg_hi:[1,0,0]
	v_pk_mul_f32 v[22:23], v[22:23], s[0:1] op_sel_hi:[1,0]
	v_pk_add_f32 v[26:27], v[24:25], v[10:11]
	v_pk_add_f32 v[24:25], v[24:25], v[10:11] neg_lo:[0,1] neg_hi:[0,1]
	v_pk_add_f32 v[28:29], v[14:15], v[10:11]
	v_pk_add_f32 v[10:11], v[18:19], v[22:23] op_sel:[0,1] op_sel_hi:[1,0] neg_lo:[0,1] neg_hi:[0,1]
	v_pk_add_f32 v[14:15], v[18:19], v[22:23] op_sel:[0,1] op_sel_hi:[1,0]
	v_pk_fma_f32 v[8:9], v[26:27], 0.5, v[8:9] op_sel_hi:[1,0,1] neg_lo:[1,0,0] neg_hi:[1,0,0]
	v_pk_mul_f32 v[18:19], v[24:25], s[0:1] op_sel_hi:[1,0]
	v_mov_b32_e32 v26, v10
	v_pk_add_f32 v[22:23], v[8:9], v[18:19] op_sel:[0,1] op_sel_hi:[1,0]
	v_pk_add_f32 v[8:9], v[8:9], v[18:19] op_sel:[0,1] op_sel_hi:[1,0] neg_lo:[0,1] neg_hi:[0,1]
	v_mov_b32_e32 v27, v15
	v_mov_b32_e32 v18, v22
	;; [unrolled: 1-line block ×4, first 2 shown]
	ds_write2_b64 v61, v[28:29], v[18:19] offset1:7
	ds_write_b64 v61, v[8:9] offset:112
	s_and_saveexec_b64 s[0:1], s[2:3]
	s_cbranch_execz .LBB0_11
; %bb.10:
	v_pk_add_f32 v[8:9], v[12:13], v[20:21]
	v_add_lshl_u32 v10, v62, v60, 3
	v_pk_add_f32 v[8:9], v[8:9], v[16:17]
	v_mov_b32_e32 v15, v11
	ds_write2_b64 v10, v[8:9], v[14:15] offset1:7
	ds_write_b64 v10, v[26:27] offset:112
.LBB0_11:
	s_or_b64 exec, exec, s[0:1]
	s_movk_i32 s0, 0x87
	v_mul_lo_u16_sdwa v8, v37, s0 dst_sel:DWORD dst_unused:UNUSED_PAD src0_sel:BYTE_0 src1_sel:DWORD
	v_sub_u16_sdwa v9, v37, v8 dst_sel:DWORD dst_unused:UNUSED_PAD src0_sel:DWORD src1_sel:BYTE_1
	v_lshrrev_b16_e32 v9, 1, v9
	v_and_b32_e32 v9, 0x7f, v9
	v_add_u16_sdwa v8, v9, v8 dst_sel:DWORD dst_unused:UNUSED_PAD src0_sel:DWORD src1_sel:BYTE_1
	v_lshrrev_b16_e32 v8, 4, v8
	v_and_b32_e32 v28, 15, v8
	v_mul_lo_u16_e32 v8, 21, v28
	v_sub_u16_e32 v8, v37, v8
	v_and_b32_e32 v29, 0xff, v8
	v_lshlrev_b32_e32 v16, 5, v29
	s_waitcnt lgkmcnt(0)
	s_barrier
	global_load_dwordx4 v[12:15], v16, s[14:15] offset:112
	global_load_dwordx4 v[8:11], v16, s[14:15] offset:128
	v_add_u32_e32 v42, 0x800, v38
	ds_read_b64 v[24:25], v38
	ds_read2_b64 v[16:19], v38 offset0:105 offset1:210
	ds_read2_b64 v[20:23], v42 offset0:59 offset1:164
	v_mul_u32_u24_sdwa v28, v28, s19 dst_sel:DWORD dst_unused:UNUSED_PAD src0_sel:WORD_0 src1_sel:DWORD
	v_add_lshl_u32 v63, v28, v29, 3
	s_mov_b32 s18, 0x3f737871
	s_mov_b32 s20, 0x3f167918
	;; [unrolled: 1-line block ×3, first 2 shown]
	v_lshlrev_b32_e32 v39, 5, v37
	s_waitcnt lgkmcnt(0)
	s_barrier
	v_add_u32_e32 v43, 0x400, v38
	s_waitcnt vmcnt(1)
	v_pk_mul_f32 v[28:29], v[16:17], v[12:13] op_sel:[0,1]
	v_mov_b32_e32 v30, v15
	s_waitcnt vmcnt(0)
	v_pk_mul_f32 v[32:33], v[20:21], v[8:9] op_sel:[0,1]
	v_mov_b32_e32 v34, v11
	v_pk_fma_f32 v[44:45], v[16:17], v[12:13], v[28:29] op_sel:[0,0,1] op_sel_hi:[1,1,0] neg_lo:[0,0,1] neg_hi:[0,0,1]
	v_pk_fma_f32 v[16:17], v[16:17], v[12:13], v[28:29] op_sel:[0,0,1] op_sel_hi:[1,0,0]
	v_pk_mul_f32 v[28:29], v[18:19], v[30:31] op_sel_hi:[1,0]
	v_pk_fma_f32 v[30:31], v[20:21], v[8:9], v[32:33] op_sel:[0,0,1] op_sel_hi:[1,1,0] neg_lo:[0,0,1] neg_hi:[0,0,1]
	v_pk_fma_f32 v[20:21], v[20:21], v[8:9], v[32:33] op_sel:[0,0,1] op_sel_hi:[1,0,0]
	v_pk_mul_f32 v[32:33], v[22:23], v[34:35] op_sel_hi:[1,0]
	v_mov_b32_e32 v45, v17
	v_pk_fma_f32 v[16:17], v[18:19], v[14:15], v[28:29] op_sel:[0,0,1] op_sel_hi:[1,1,0] neg_lo:[0,0,1] neg_hi:[0,0,1]
	v_pk_fma_f32 v[18:19], v[18:19], v[14:15], v[28:29] op_sel:[0,0,1] op_sel_hi:[1,0,0]
	v_mov_b32_e32 v31, v21
	v_pk_fma_f32 v[20:21], v[22:23], v[10:11], v[32:33] op_sel:[0,0,1] op_sel_hi:[1,1,0] neg_lo:[0,0,1] neg_hi:[0,0,1]
	v_pk_fma_f32 v[22:23], v[22:23], v[10:11], v[32:33] op_sel:[0,0,1] op_sel_hi:[1,0,0]
	v_mov_b32_e32 v17, v19
	v_mov_b32_e32 v21, v23
	v_pk_add_f32 v[18:19], v[24:25], v[44:45]
	v_pk_add_f32 v[22:23], v[16:17], v[30:31]
	;; [unrolled: 1-line block ×3, first 2 shown]
	v_pk_add_f32 v[28:29], v[44:45], v[20:21] neg_lo:[0,1] neg_hi:[0,1]
	v_pk_add_f32 v[32:33], v[16:17], v[30:31] neg_lo:[0,1] neg_hi:[0,1]
	v_pk_add_f32 v[48:49], v[44:45], v[20:21]
	v_pk_add_f32 v[34:35], v[44:45], v[16:17] neg_lo:[0,1] neg_hi:[0,1]
	v_pk_add_f32 v[46:47], v[20:21], v[30:31] neg_lo:[0,1] neg_hi:[0,1]
	;; [unrolled: 1-line block ×4, first 2 shown]
	v_pk_add_f32 v[18:19], v[18:19], v[30:31]
	v_pk_fma_f32 v[22:23], v[22:23], 0.5, v[24:25] op_sel_hi:[1,0,1] neg_lo:[1,0,0] neg_hi:[1,0,0]
	v_pk_mul_f32 v[30:31], v[28:29], s[18:19] op_sel_hi:[1,0]
	v_pk_mul_f32 v[50:51], v[32:33], s[20:21] op_sel_hi:[1,0]
	v_pk_fma_f32 v[24:25], v[48:49], 0.5, v[24:25] op_sel_hi:[1,0,1] neg_lo:[1,0,0] neg_hi:[1,0,0]
	v_pk_mul_f32 v[32:33], v[32:33], s[18:19] op_sel_hi:[1,0]
	v_pk_mul_f32 v[28:29], v[28:29], s[20:21] op_sel_hi:[1,0]
	v_pk_add_f32 v[18:19], v[18:19], v[20:21]
	v_pk_add_f32 v[20:21], v[22:23], v[30:31] op_sel:[0,1] op_sel_hi:[1,0]
	v_pk_add_f32 v[22:23], v[22:23], v[30:31] op_sel:[0,1] op_sel_hi:[1,0] neg_lo:[0,1] neg_hi:[0,1]
	v_pk_add_f32 v[30:31], v[24:25], v[32:33] op_sel:[0,1] op_sel_hi:[1,0] neg_lo:[0,1] neg_hi:[0,1]
	v_pk_add_f32 v[24:25], v[24:25], v[32:33] op_sel:[0,1] op_sel_hi:[1,0]
	v_pk_add_f32 v[22:23], v[22:23], v[50:51] op_sel:[0,1] op_sel_hi:[1,0] neg_lo:[0,1] neg_hi:[0,1]
	v_pk_add_f32 v[20:21], v[20:21], v[50:51] op_sel:[0,1] op_sel_hi:[1,0]
	;; [unrolled: 2-line block ×3, first 2 shown]
	v_pk_add_f32 v[34:35], v[34:35], v[46:47]
	v_pk_add_f32 v[16:17], v[16:17], v[44:45]
	v_mov_b32_e32 v30, v20
	v_mov_b32_e32 v31, v23
	;; [unrolled: 1-line block ×6, first 2 shown]
	v_pk_fma_f32 v[20:21], v[34:35], s[0:1], v[30:31] op_sel_hi:[1,0,1]
	v_pk_fma_f32 v[28:29], v[16:17], s[0:1], v[32:33] op_sel_hi:[1,0,1]
	;; [unrolled: 1-line block ×4, first 2 shown]
	ds_write2_b64 v63, v[18:19], v[20:21] offset1:21
	ds_write2_b64 v63, v[28:29], v[16:17] offset0:42 offset1:63
	ds_write_b64 v63, v[22:23] offset:672
	s_waitcnt lgkmcnt(0)
	s_barrier
	global_load_dwordx4 v[16:19], v39, s[14:15] offset:800
	global_load_dwordx4 v[20:23], v39, s[14:15] offset:784
	ds_read2_b64 v[28:31], v38 offset0:105 offset1:210
	ds_read2_b64 v[32:35], v42 offset0:59 offset1:164
	ds_read_b64 v[24:25], v38
	s_waitcnt vmcnt(1)
	v_mov_b32_e32 v44, v19
	s_waitcnt vmcnt(0) lgkmcnt(2)
	v_pk_mul_f32 v[46:47], v[28:29], v[20:21] op_sel:[0,1]
	v_pk_mul_f32 v[48:49], v[30:31], v[22:23] op_sel_hi:[1,0]
	v_mov_b32_e32 v50, v23
	v_mov_b32_e32 v54, v23
	s_waitcnt lgkmcnt(1)
	v_pk_mul_f32 v[56:57], v[32:33], v[16:17] op_sel_hi:[1,0]
	v_mov_b32_e32 v58, v17
	v_pk_mul_f32 v[44:45], v[34:35], v[44:45] op_sel_hi:[1,0]
	v_pk_fma_f32 v[64:65], v[28:29], v[20:21], v[46:47] op_sel:[0,0,1] op_sel_hi:[1,1,0] neg_lo:[0,0,1] neg_hi:[0,0,1]
	v_pk_fma_f32 v[28:29], v[28:29], v[20:21], v[46:47] op_sel:[0,0,1] op_sel_hi:[1,0,0]
	v_pk_fma_f32 v[46:47], v[30:31], v[50:51], v[48:49] op_sel:[0,0,1] op_sel_hi:[1,1,0]
	v_pk_fma_f32 v[30:31], v[30:31], v[54:55], v[48:49] op_sel:[0,0,1] op_sel_hi:[1,0,0] neg_lo:[1,0,0] neg_hi:[1,0,0]
	v_pk_fma_f32 v[48:49], v[32:33], v[58:59], v[56:57] op_sel:[0,0,1] op_sel_hi:[1,1,0]
	v_pk_fma_f32 v[32:33], v[32:33], v[16:17], v[56:57] op_sel:[0,1,1] op_sel_hi:[1,1,0] neg_lo:[1,0,0] neg_hi:[1,0,0]
	v_pk_fma_f32 v[50:51], v[34:35], v[18:19], v[44:45] op_sel:[0,0,1] op_sel_hi:[1,1,0] neg_lo:[0,0,1] neg_hi:[0,0,1]
	v_pk_fma_f32 v[34:35], v[34:35], v[18:19], v[44:45] op_sel:[0,0,1] op_sel_hi:[1,0,0]
	v_mov_b32_e32 v65, v29
	v_mov_b32_e32 v47, v31
	;; [unrolled: 1-line block ×7, first 2 shown]
	v_pk_add_f32 v[32:33], v[46:47], v[48:49] neg_lo:[0,1] neg_hi:[0,1]
	s_waitcnt lgkmcnt(0)
	v_pk_add_f32 v[34:35], v[24:25], v[64:65]
	v_pk_add_f32 v[46:47], v[46:47], v[48:49]
	v_mov_b32_e32 v31, v48
	v_pk_add_f32 v[44:45], v[64:65], v[28:29] neg_lo:[0,1] neg_hi:[0,1]
	v_pk_add_f32 v[48:49], v[28:29], v[64:65] neg_lo:[0,1] neg_hi:[0,1]
	;; [unrolled: 1-line block ×3, first 2 shown]
	v_pk_add_f32 v[56:57], v[64:65], v[50:51]
	v_pk_add_f32 v[28:29], v[34:35], v[28:29]
	v_pk_mul_f32 v[46:47], v[46:47], 0.5 op_sel_hi:[1,0]
	v_pk_add_f32 v[34:35], v[50:51], v[30:31] neg_lo:[0,1] neg_hi:[0,1]
	v_pk_add_f32 v[58:59], v[30:31], v[50:51] neg_lo:[0,1] neg_hi:[0,1]
	v_pk_fma_f32 v[56:57], v[56:57], 0.5, v[24:25] op_sel_hi:[1,0,1] neg_lo:[1,0,0] neg_hi:[1,0,0]
	v_pk_add_f32 v[28:29], v[28:29], v[30:31]
	v_pk_add_f32 v[24:25], v[24:25], v[46:47] op_sel:[0,1] op_sel_hi:[1,0] neg_lo:[0,1] neg_hi:[0,1]
	v_pk_mul_f32 v[30:31], v[54:55], s[18:19] op_sel_hi:[1,0]
	v_pk_mul_f32 v[64:65], v[54:55], s[20:21] op_sel_hi:[1,0]
	v_pk_add_f32 v[34:35], v[44:45], v[34:35]
	v_pk_add_f32 v[44:45], v[48:49], v[58:59]
	v_pk_fma_f32 v[46:47], v[32:33], s[18:19], v[56:57] op_sel_hi:[1,0,1] neg_lo:[1,0,0] neg_hi:[1,0,0]
	v_pk_add_f32 v[48:49], v[24:25], v[30:31] op_sel:[0,1] op_sel_hi:[1,0]
	v_pk_add_f32 v[24:25], v[24:25], v[30:31] op_sel:[0,1] op_sel_hi:[1,0] neg_lo:[0,1] neg_hi:[0,1]
	v_pk_fma_f32 v[30:31], v[32:33], s[18:19], v[56:57] op_sel_hi:[1,0,1]
	v_pk_add_f32 v[46:47], v[64:65], v[46:47] op_sel:[1,0] op_sel_hi:[0,1]
	v_pk_fma_f32 v[24:25], v[32:33], s[20:21], v[24:25] op_sel_hi:[1,0,1] neg_lo:[1,0,0] neg_hi:[1,0,0]
	v_pk_fma_f32 v[32:33], v[32:33], s[20:21], v[48:49] op_sel_hi:[1,0,1]
	v_pk_add_f32 v[48:49], v[30:31], v[64:65] op_sel:[0,1] op_sel_hi:[1,0] neg_lo:[0,1] neg_hi:[0,1]
	v_mov_b32_e32 v30, v32
	v_mov_b32_e32 v31, v25
	;; [unrolled: 1-line block ×6, first 2 shown]
	v_pk_add_f32 v[28:29], v[28:29], v[50:51]
	v_pk_fma_f32 v[30:31], v[34:35], s[0:1], v[30:31] op_sel_hi:[1,0,1]
	v_pk_fma_f32 v[24:25], v[34:35], s[0:1], v[24:25] op_sel_hi:[1,0,1]
	;; [unrolled: 1-line block ×4, first 2 shown]
	ds_write_b64 v38, v[28:29]
	ds_write_b64 v38, v[30:31] offset:840
	ds_write2_b64 v43, v[32:33], v[34:35] offset0:82 offset1:187
	ds_write_b64 v38, v[24:25] offset:3360
	s_waitcnt lgkmcnt(0)
	s_barrier
	s_and_saveexec_b64 s[0:1], s[6:7]
	s_cbranch_execz .LBB0_13
; %bb.12:
	v_mov_b32_e32 v39, 0
	v_lshl_add_u64 v[44:45], s[12:13], 0, v[38:39]
	v_add_co_u32_e32 v46, vcc, 0x1000, v44
	s_mov_b64 s[14:15], 0x1068
	s_nop 0
	v_addc_co_u32_e32 v47, vcc, 0, v45, vcc
	global_load_dwordx2 v[46:47], v[46:47], off offset:104
	v_lshl_add_u64 v[44:45], v[44:45], 0, s[14:15]
	global_load_dwordx2 v[58:59], v[44:45], off offset:600
	global_load_dwordx2 v[64:65], v[44:45], off offset:1200
	;; [unrolled: 1-line block ×6, first 2 shown]
	ds_read_b64 v[44:45], v38
	s_waitcnt vmcnt(6) lgkmcnt(0)
	v_mul_f32_e32 v39, v45, v47
	v_mul_f32_e32 v49, v44, v47
	v_fma_f32 v48, v44, v46, -v39
	v_fmac_f32_e32 v49, v45, v46
	ds_write_b64 v38, v[48:49]
	ds_read2_b64 v[44:47], v38 offset0:75 offset1:150
	ds_read2_b64 v[48:51], v43 offset0:97 offset1:172
	;; [unrolled: 1-line block ×3, first 2 shown]
	s_waitcnt vmcnt(5) lgkmcnt(2)
	v_mul_f32_e32 v39, v45, v59
	v_mul_f32_e32 v75, v44, v59
	s_waitcnt vmcnt(4)
	v_mul_f32_e32 v53, v47, v65
	v_mul_f32_e32 v59, v46, v65
	s_waitcnt vmcnt(3) lgkmcnt(1)
	v_mul_f32_e32 v76, v49, v67
	v_mul_f32_e32 v65, v48, v67
	s_waitcnt vmcnt(2)
	v_mul_f32_e32 v77, v51, v69
	v_mul_f32_e32 v67, v50, v69
	;; [unrolled: 6-line block ×3, first 2 shown]
	v_fma_f32 v74, v44, v58, -v39
	v_fmac_f32_e32 v75, v45, v58
	v_fma_f32 v58, v46, v64, -v53
	v_fmac_f32_e32 v59, v47, v64
	;; [unrolled: 2-line block ×6, first 2 shown]
	ds_write2_b64 v38, v[74:75], v[58:59] offset0:75 offset1:150
	ds_write2_b64 v43, v[64:65], v[66:67] offset0:97 offset1:172
	;; [unrolled: 1-line block ×3, first 2 shown]
.LBB0_13:
	s_or_b64 exec, exec, s[0:1]
	s_waitcnt lgkmcnt(0)
	s_barrier
	s_and_saveexec_b64 s[0:1], s[6:7]
	s_cbranch_execz .LBB0_15
; %bb.14:
	v_add_u32_e32 v24, 0x800, v38
	ds_read2_b64 v[28:31], v38 offset1:75
	ds_read2_b64 v[32:35], v38 offset0:150 offset1:225
	ds_read2_b64 v[24:27], v24 offset0:44 offset1:119
	ds_read_b64 v[40:41], v38 offset:3600
.LBB0_15:
	s_or_b64 exec, exec, s[0:1]
	s_waitcnt lgkmcnt(0)
	v_pk_add_f32 v[42:43], v[40:41], v[30:31]
	v_pk_add_f32 v[30:31], v[30:31], v[40:41] neg_lo:[0,1] neg_hi:[0,1]
	v_pk_add_f32 v[40:41], v[26:27], v[32:33]
	v_pk_add_f32 v[32:33], v[32:33], v[26:27] neg_lo:[0,1] neg_hi:[0,1]
	;; [unrolled: 2-line block ×4, first 2 shown]
	v_pk_add_f32 v[40:41], v[44:45], v[40:41] neg_lo:[0,1] neg_hi:[0,1]
	v_pk_add_f32 v[50:51], v[24:25], v[32:33] op_sel:[1,1] op_sel_hi:[0,0] neg_lo:[0,1] neg_hi:[0,1]
	v_pk_add_f32 v[46:47], v[44:45], v[46:47]
	s_mov_b32 s18, 0x3d64c772
	s_mov_b32 s22, 0x3f08b237
	v_pk_add_f32 v[26:27], v[42:43], v[44:45] neg_lo:[0,1] neg_hi:[0,1]
	v_pk_add_f32 v[34:35], v[30:31], v[24:25] op_sel:[1,1] op_sel_hi:[0,0] neg_lo:[0,1] neg_hi:[0,1]
	s_mov_b32 s0, 0x3f4a47b2
	v_pk_add_f32 v[42:43], v[24:25], v[32:33] op_sel:[1,1] op_sel_hi:[0,0]
	v_pk_add_f32 v[32:33], v[32:33], v[30:31] op_sel:[1,1] op_sel_hi:[0,0] neg_lo:[0,1] neg_hi:[0,1]
	v_pk_add_f32 v[24:25], v[28:29], v[46:47]
	s_mov_b32 s14, 0xbf955555
	v_pk_mul_f32 v[40:41], v[40:41], s[18:19] op_sel_hi:[1,0]
	s_mov_b32 s20, 0x3f3bfb3b
	v_pk_mul_f32 v[44:45], v[50:51], s[22:23] op_sel_hi:[1,0]
	;; [unrolled: 2-line block ×3, first 2 shown]
	s_mov_b32 s0, 0xbeae86e6
	v_pk_add_f32 v[42:43], v[42:43], v[30:31] op_sel:[0,1] op_sel_hi:[1,0]
	s_mov_b32 s18, 0xbee1c552
	v_pk_mul_f32 v[28:29], v[32:33], s[22:23] op_sel_hi:[1,0]
	v_pk_fma_f32 v[46:47], v[46:47], s[14:15], v[24:25] op_sel_hi:[1,0,1]
	v_pk_fma_f32 v[30:31], v[48:49], s[20:21], v[40:41] op_sel_hi:[1,0,1] neg_lo:[0,0,1] neg_hi:[0,0,1]
	v_pk_fma_f32 v[32:33], v[32:33], s[22:23], v[44:45] op_sel_hi:[1,0,1] neg_lo:[0,0,1] neg_hi:[0,0,1]
	v_pk_add_f32 v[54:55], v[30:31], v[46:47]
	v_pk_fma_f32 v[32:33], v[42:43], s[18:19], v[32:33] op_sel_hi:[1,0,1]
	v_pk_fma_f32 v[30:31], v[48:49], s[20:21], v[26:27] op_sel_hi:[1,0,1] neg_lo:[1,0,1] neg_hi:[1,0,1]
	v_pk_fma_f32 v[28:29], v[34:35], s[0:1], v[28:29] op_sel_hi:[1,0,1] neg_lo:[1,0,1] neg_hi:[1,0,1]
	v_pk_add_f32 v[48:49], v[30:31], v[46:47]
	v_pk_fma_f32 v[50:51], v[42:43], s[18:19], v[28:29] op_sel_hi:[1,0,1]
	v_pk_add_f32 v[28:29], v[54:55], v[32:33] neg_lo:[0,1] neg_hi:[0,1]
	v_pk_add_f32 v[30:31], v[54:55], v[32:33]
	v_mov_b32_e32 v56, v33
	v_mov_b32_e32 v29, v31
	;; [unrolled: 1-line block ×5, first 2 shown]
	v_pk_add_f32 v[30:31], v[30:31], v[56:57] neg_lo:[0,1] neg_hi:[0,1]
	v_mov_b32_e32 v56, v51
	v_mov_b32_e32 v57, v32
	;; [unrolled: 1-line block ×4, first 2 shown]
	v_pk_add_f32 v[32:33], v[56:57], v[32:33]
	s_barrier
	s_and_saveexec_b64 s[14:15], s[6:7]
	s_cbranch_execz .LBB0_17
; %bb.16:
	v_pk_mul_f32 v[34:35], v[34:35], s[0:1] op_sel_hi:[1,0]
	v_pk_mul_f32 v[42:43], v[42:43], s[18:19] op_sel_hi:[1,0]
	v_pk_add_f32 v[26:27], v[40:41], v[26:27]
	v_pk_add_f32 v[34:35], v[44:45], v[34:35]
	;; [unrolled: 1-line block ×6, first 2 shown]
	v_pk_add_f32 v[26:27], v[26:27], v[34:35] neg_lo:[0,1] neg_hi:[0,1]
	v_pk_add_f32 v[48:49], v[48:49], v[50:51] neg_lo:[0,1] neg_hi:[0,1]
	v_lshlrev_b32_e32 v39, 3, v52
	v_mov_b32_e32 v34, v40
	v_mov_b32_e32 v35, v27
	ds_write2_b64 v39, v[24:25], v[34:35] offset1:1
	v_mov_b32_e32 v55, v49
	v_mov_b32_e32 v24, v33
	;; [unrolled: 1-line block ×6, first 2 shown]
	ds_write2_b64 v39, v[54:55], v[28:29] offset0:2 offset1:3
	ds_write2_b64 v39, v[24:25], v[34:35] offset0:4 offset1:5
	ds_write_b64 v39, v[26:27] offset:48
.LBB0_17:
	s_or_b64 exec, exec, s[14:15]
	s_waitcnt lgkmcnt(0)
	s_barrier
	ds_read2_b64 v[24:27], v38 offset1:175
	ds_read_b64 v[46:47], v38 offset:2800
	s_and_saveexec_b64 s[0:1], s[4:5]
	s_xor_b64 s[0:1], exec, s[0:1]
	s_or_saveexec_b64 s[0:1], s[0:1]
	v_mov_b32_e32 v58, v4
	v_mov_b32_e32 v59, v4
	;; [unrolled: 1-line block ×6, first 2 shown]
	s_xor_b64 exec, exec, s[0:1]
	s_cbranch_execz .LBB0_19
; %bb.18:
	v_add_u32_e32 v28, 0x800, v38
	ds_read2_b64 v[40:43], v28 offset0:24 offset1:199
	ds_read_b64 v[28:29], v38 offset:840
	s_waitcnt lgkmcnt(1)
	v_mov_b32_e32 v32, v43
	v_mov_b32_e32 v33, v40
	;; [unrolled: 1-line block ×4, first 2 shown]
.LBB0_19:
	s_or_b64 exec, exec, s[0:1]
	s_waitcnt lgkmcnt(1)
	v_pk_mul_f32 v[4:5], v[4:5], v[26:27]
	s_waitcnt lgkmcnt(0)
	v_pk_mul_f32 v[6:7], v[6:7], v[46:47]
	v_pk_fma_f32 v[64:65], v[58:59], v[26:27], v[4:5] op_sel:[0,0,1] op_sel_hi:[1,1,0]
	v_pk_fma_f32 v[4:5], v[58:59], v[26:27], v[4:5] op_sel:[0,0,1] op_sel_hi:[1,1,0] neg_lo:[0,0,1] neg_hi:[0,0,1]
	s_mov_b32 s0, 0x3f5db3d7
	v_mov_b32_e32 v65, v5
	v_pk_fma_f32 v[4:5], v[56:57], v[46:47], v[6:7] op_sel:[0,0,1] op_sel_hi:[1,1,0]
	v_pk_fma_f32 v[6:7], v[56:57], v[46:47], v[6:7] op_sel:[0,0,1] op_sel_hi:[1,1,0] neg_lo:[0,0,1] neg_hi:[0,0,1]
	v_mov_b32_e32 v54, v12
	v_mov_b32_e32 v5, v7
	v_pk_add_f32 v[6:7], v[24:25], v[64:65]
	v_pk_add_f32 v[26:27], v[64:65], v[4:5]
	;; [unrolled: 1-line block ×3, first 2 shown]
	v_pk_add_f32 v[4:5], v[64:65], v[4:5] neg_lo:[0,1] neg_hi:[0,1]
	v_pk_fma_f32 v[24:25], -0.5, v[26:27], v[24:25] op_sel_hi:[0,1,1]
	v_pk_mul_f32 v[4:5], v[4:5], s[0:1] op_sel_hi:[1,0]
	v_mov_b32_e32 v55, v12
	v_pk_add_f32 v[26:27], v[24:25], v[4:5] op_sel:[0,1] op_sel_hi:[1,0] neg_lo:[0,1] neg_hi:[0,1]
	v_pk_add_f32 v[4:5], v[24:25], v[4:5] op_sel:[0,1] op_sel_hi:[1,0]
	v_mov_b32_e32 v12, v13
	v_mov_b32_e32 v52, v14
	;; [unrolled: 1-line block ×25, first 2 shown]
	s_barrier
	ds_write2_b64 v61, v[6:7], v[24:25] offset1:7
	ds_write_b64 v61, v[4:5] offset:112
	s_and_saveexec_b64 s[4:5], s[2:3]
	s_cbranch_execz .LBB0_21
; %bb.20:
	v_pk_mul_f32 v[4:5], v[0:1], v[30:31] op_sel_hi:[1,0]
	v_pk_mul_f32 v[6:7], v[2:3], v[32:33] op_sel_hi:[1,0]
	v_pk_fma_f32 v[24:25], v[0:1], v[32:33], v[4:5] op_sel:[0,1,1] op_sel_hi:[1,1,0]
	v_pk_fma_f32 v[0:1], v[0:1], v[32:33], v[4:5] op_sel:[0,1,1] op_sel_hi:[1,1,0] neg_lo:[1,0,0] neg_hi:[1,0,0]
	v_add_lshl_u32 v26, v62, v60, 3
	v_mov_b32_e32 v25, v1
	v_pk_fma_f32 v[0:1], v[2:3], v[30:31], v[6:7] op_sel:[0,1,1] op_sel_hi:[1,1,0]
	v_pk_fma_f32 v[2:3], v[2:3], v[30:31], v[6:7] op_sel:[0,1,1] op_sel_hi:[1,1,0] neg_lo:[1,0,0] neg_hi:[1,0,0]
	s_nop 0
	v_mov_b32_e32 v1, v3
	v_pk_add_f32 v[2:3], v[28:29], v[24:25]
	v_pk_add_f32 v[4:5], v[0:1], v[24:25]
	;; [unrolled: 1-line block ×3, first 2 shown]
	v_pk_add_f32 v[0:1], v[24:25], v[0:1] neg_lo:[0,1] neg_hi:[0,1]
	v_pk_fma_f32 v[4:5], -0.5, v[4:5], v[28:29] op_sel_hi:[0,1,1]
	v_pk_mul_f32 v[0:1], v[0:1], s[0:1] op_sel_hi:[1,0]
	s_nop 0
	v_pk_add_f32 v[6:7], v[4:5], v[0:1] op_sel:[0,1] op_sel_hi:[1,0] neg_lo:[0,1] neg_hi:[0,1]
	v_pk_add_f32 v[0:1], v[4:5], v[0:1] op_sel:[0,1] op_sel_hi:[1,0]
	v_mov_b32_e32 v4, v6
	v_mov_b32_e32 v5, v1
	;; [unrolled: 1-line block ×3, first 2 shown]
	ds_write2_b64 v26, v[2:3], v[4:5] offset1:7
	ds_write_b64 v26, v[0:1] offset:112
.LBB0_21:
	s_or_b64 exec, exec, s[4:5]
	s_waitcnt lgkmcnt(0)
	s_barrier
	ds_read2_b64 v[2:5], v38 offset0:105 offset1:210
	ds_read_b64 v[6:7], v38
	v_add_u32_e32 v0, 0x800, v38
	ds_read2_b64 v[24:27], v0 offset0:59 offset1:164
	s_mov_b32 s2, 0x3f737871
	s_waitcnt lgkmcnt(2)
	v_pk_mul_f32 v[12:13], v[12:13], v[2:3]
	s_mov_b32 s4, 0x3f167918
	v_pk_fma_f32 v[28:29], v[54:55], v[2:3], v[12:13] op_sel:[0,0,1] op_sel_hi:[1,1,0]
	v_pk_fma_f32 v[2:3], v[54:55], v[2:3], v[12:13] op_sel:[0,0,1] op_sel_hi:[1,1,0] neg_lo:[0,0,1] neg_hi:[0,0,1]
	s_mov_b32 s0, 0x3e9e377a
	v_mov_b32_e32 v29, v3
	v_pk_mul_f32 v[2:3], v[14:15], v[4:5]
	s_waitcnt lgkmcnt(0)
	v_pk_fma_f32 v[12:13], v[52:53], v[4:5], v[2:3] op_sel:[0,0,1] op_sel_hi:[1,1,0]
	v_pk_fma_f32 v[2:3], v[52:53], v[4:5], v[2:3] op_sel:[0,0,1] op_sel_hi:[1,1,0] neg_lo:[0,0,1] neg_hi:[0,0,1]
	s_barrier
	v_mov_b32_e32 v13, v3
	v_pk_mul_f32 v[2:3], v[8:9], v[24:25]
	v_pk_add_f32 v[32:33], v[28:29], v[12:13] neg_lo:[0,1] neg_hi:[0,1]
	v_pk_fma_f32 v[4:5], v[50:51], v[24:25], v[2:3] op_sel:[0,0,1] op_sel_hi:[1,1,0]
	v_pk_fma_f32 v[2:3], v[50:51], v[24:25], v[2:3] op_sel:[0,0,1] op_sel_hi:[1,1,0] neg_lo:[0,0,1] neg_hi:[0,0,1]
	s_nop 0
	v_mov_b32_e32 v5, v3
	v_pk_mul_f32 v[2:3], v[10:11], v[26:27]
	v_pk_add_f32 v[10:11], v[12:13], v[4:5]
	v_pk_fma_f32 v[8:9], v[48:49], v[26:27], v[2:3] op_sel:[0,0,1] op_sel_hi:[1,1,0]
	v_pk_fma_f32 v[2:3], v[48:49], v[26:27], v[2:3] op_sel:[0,0,1] op_sel_hi:[1,1,0] neg_lo:[0,0,1] neg_hi:[0,0,1]
	v_pk_fma_f32 v[10:11], v[10:11], 0.5, v[6:7] op_sel_hi:[1,0,1] neg_lo:[1,0,0] neg_hi:[1,0,0]
	v_mov_b32_e32 v9, v3
	v_pk_add_f32 v[14:15], v[28:29], v[8:9] neg_lo:[0,1] neg_hi:[0,1]
	v_pk_add_f32 v[26:27], v[12:13], v[4:5] neg_lo:[0,1] neg_hi:[0,1]
	v_pk_mul_f32 v[24:25], v[14:15], s[2:3] op_sel_hi:[1,0]
	v_pk_add_f32 v[46:47], v[8:9], v[4:5] neg_lo:[0,1] neg_hi:[0,1]
	v_pk_add_f32 v[2:3], v[6:7], v[28:29]
	v_pk_mul_f32 v[30:31], v[26:27], s[4:5] op_sel_hi:[1,0]
	v_pk_add_f32 v[32:33], v[32:33], v[46:47]
	v_pk_add_f32 v[46:47], v[10:11], v[24:25] op_sel:[0,1] op_sel_hi:[1,0] neg_lo:[0,1] neg_hi:[0,1]
	v_pk_add_f32 v[10:11], v[10:11], v[24:25] op_sel:[0,1] op_sel_hi:[1,0]
	v_pk_add_f32 v[2:3], v[2:3], v[12:13]
	v_pk_add_f32 v[10:11], v[10:11], v[30:31] op_sel:[0,1] op_sel_hi:[1,0]
	v_pk_add_f32 v[24:25], v[46:47], v[30:31] op_sel:[0,1] op_sel_hi:[1,0] neg_lo:[0,1] neg_hi:[0,1]
	v_pk_add_f32 v[2:3], v[2:3], v[4:5]
	v_mov_b32_e32 v30, v24
	v_mov_b32_e32 v31, v11
	v_pk_add_f32 v[2:3], v[2:3], v[8:9]
	v_pk_fma_f32 v[30:31], v[32:33], s[0:1], v[30:31] op_sel_hi:[1,0,1]
	ds_write2_b64 v63, v[2:3], v[30:31] offset1:21
	v_pk_add_f32 v[2:3], v[28:29], v[8:9]
	v_pk_add_f32 v[4:5], v[4:5], v[8:9] neg_lo:[0,1] neg_hi:[0,1]
	v_pk_fma_f32 v[2:3], v[2:3], 0.5, v[6:7] op_sel_hi:[1,0,1] neg_lo:[1,0,0] neg_hi:[1,0,0]
	v_pk_add_f32 v[6:7], v[12:13], v[28:29] neg_lo:[0,1] neg_hi:[0,1]
	v_pk_mul_f32 v[8:9], v[14:15], s[4:5] op_sel_hi:[1,0]
	v_pk_add_f32 v[4:5], v[6:7], v[4:5]
	v_pk_mul_f32 v[6:7], v[26:27], s[2:3] op_sel_hi:[1,0]
	v_mov_b32_e32 v11, v25
	v_pk_add_f32 v[12:13], v[2:3], v[6:7] op_sel:[0,1] op_sel_hi:[1,0]
	v_pk_add_f32 v[2:3], v[2:3], v[6:7] op_sel:[0,1] op_sel_hi:[1,0] neg_lo:[0,1] neg_hi:[0,1]
	v_pk_add_f32 v[6:7], v[12:13], v[8:9] op_sel:[0,1] op_sel_hi:[1,0] neg_lo:[0,1] neg_hi:[0,1]
	v_pk_add_f32 v[2:3], v[2:3], v[8:9] op_sel:[0,1] op_sel_hi:[1,0]
	v_mov_b32_e32 v8, v6
	v_mov_b32_e32 v9, v3
	;; [unrolled: 1-line block ×3, first 2 shown]
	v_pk_fma_f32 v[8:9], v[4:5], s[0:1], v[8:9] op_sel_hi:[1,0,1]
	v_pk_fma_f32 v[2:3], v[4:5], s[0:1], v[2:3] op_sel_hi:[1,0,1]
	ds_write2_b64 v63, v[8:9], v[2:3] offset0:42 offset1:63
	v_pk_fma_f32 v[2:3], v[32:33], s[0:1], v[10:11] op_sel_hi:[1,0,1]
	ds_write_b64 v63, v[2:3] offset:672
	s_waitcnt lgkmcnt(0)
	s_barrier
	ds_read2_b64 v[2:5], v38 offset0:105 offset1:210
	ds_read_b64 v[10:11], v38
	ds_read2_b64 v[6:9], v0 offset0:59 offset1:164
	v_add_u32_e32 v1, 0x400, v38
	s_waitcnt lgkmcnt(2)
	v_pk_mul_f32 v[12:13], v[20:21], v[2:3]
	s_nop 0
	v_pk_fma_f32 v[14:15], v[44:45], v[2:3], v[12:13] op_sel:[0,0,1] op_sel_hi:[1,1,0]
	v_pk_fma_f32 v[2:3], v[44:45], v[2:3], v[12:13] op_sel:[0,0,1] op_sel_hi:[1,1,0] neg_lo:[0,0,1] neg_hi:[0,0,1]
	s_nop 0
	v_mov_b32_e32 v15, v3
	v_pk_mul_f32 v[2:3], v[22:23], v[4:5]
	s_nop 0
	v_pk_fma_f32 v[12:13], v[42:43], v[4:5], v[2:3] op_sel:[0,0,1] op_sel_hi:[1,1,0]
	v_pk_fma_f32 v[2:3], v[42:43], v[4:5], v[2:3] op_sel:[0,0,1] op_sel_hi:[1,1,0] neg_lo:[0,0,1] neg_hi:[0,0,1]
	s_nop 0
	v_mov_b32_e32 v13, v3
	s_waitcnt lgkmcnt(0)
	v_pk_mul_f32 v[2:3], v[16:17], v[6:7]
	v_pk_add_f32 v[22:23], v[14:15], v[12:13] neg_lo:[0,1] neg_hi:[0,1]
	v_pk_fma_f32 v[4:5], v[40:41], v[6:7], v[2:3] op_sel:[0,0,1] op_sel_hi:[1,1,0]
	v_pk_fma_f32 v[2:3], v[40:41], v[6:7], v[2:3] op_sel:[0,0,1] op_sel_hi:[1,1,0] neg_lo:[0,0,1] neg_hi:[0,0,1]
	s_nop 0
	v_mov_b32_e32 v5, v3
	v_pk_mul_f32 v[2:3], v[18:19], v[8:9]
	v_pk_add_f32 v[18:19], v[12:13], v[4:5] neg_lo:[0,1] neg_hi:[0,1]
	v_pk_fma_f32 v[6:7], v[34:35], v[8:9], v[2:3] op_sel:[0,0,1] op_sel_hi:[1,1,0]
	v_pk_fma_f32 v[2:3], v[34:35], v[8:9], v[2:3] op_sel:[0,0,1] op_sel_hi:[1,1,0] neg_lo:[0,0,1] neg_hi:[0,0,1]
	v_pk_mul_f32 v[20:21], v[18:19], s[4:5] op_sel_hi:[1,0]
	v_mov_b32_e32 v7, v3
	v_pk_add_f32 v[2:3], v[10:11], v[14:15]
	v_pk_add_f32 v[8:9], v[14:15], v[6:7] neg_lo:[0,1] neg_hi:[0,1]
	v_pk_add_f32 v[2:3], v[2:3], v[12:13]
	v_pk_mul_f32 v[16:17], v[8:9], s[2:3] op_sel_hi:[1,0]
	v_pk_add_f32 v[2:3], v[2:3], v[4:5]
	v_pk_add_f32 v[24:25], v[6:7], v[4:5] neg_lo:[0,1] neg_hi:[0,1]
	v_pk_add_f32 v[2:3], v[2:3], v[6:7]
	ds_write_b64 v38, v[2:3]
	v_pk_add_f32 v[2:3], v[12:13], v[4:5]
	v_pk_add_f32 v[22:23], v[22:23], v[24:25]
	v_pk_fma_f32 v[2:3], v[2:3], 0.5, v[10:11] op_sel_hi:[1,0,1] neg_lo:[1,0,0] neg_hi:[1,0,0]
	v_pk_add_f32 v[12:13], v[12:13], v[14:15] neg_lo:[0,1] neg_hi:[0,1]
	v_pk_add_f32 v[24:25], v[2:3], v[16:17] op_sel:[0,1] op_sel_hi:[1,0] neg_lo:[0,1] neg_hi:[0,1]
	v_pk_add_f32 v[2:3], v[2:3], v[16:17] op_sel:[0,1] op_sel_hi:[1,0]
	v_pk_add_f32 v[16:17], v[24:25], v[20:21] op_sel:[0,1] op_sel_hi:[1,0] neg_lo:[0,1] neg_hi:[0,1]
	v_pk_add_f32 v[2:3], v[2:3], v[20:21] op_sel:[0,1] op_sel_hi:[1,0]
	v_mov_b32_e32 v20, v16
	v_mov_b32_e32 v21, v3
	v_pk_fma_f32 v[20:21], v[22:23], s[0:1], v[20:21] op_sel_hi:[1,0,1]
	ds_write_b64 v38, v[20:21] offset:840
	v_pk_add_f32 v[20:21], v[14:15], v[6:7]
	v_pk_add_f32 v[4:5], v[4:5], v[6:7] neg_lo:[0,1] neg_hi:[0,1]
	v_pk_fma_f32 v[10:11], v[20:21], 0.5, v[10:11] op_sel_hi:[1,0,1] neg_lo:[1,0,0] neg_hi:[1,0,0]
	v_pk_mul_f32 v[6:7], v[18:19], s[2:3] op_sel_hi:[1,0]
	v_pk_add_f32 v[4:5], v[12:13], v[4:5]
	v_pk_mul_f32 v[8:9], v[8:9], s[4:5] op_sel_hi:[1,0]
	v_pk_add_f32 v[12:13], v[10:11], v[6:7] op_sel:[0,1] op_sel_hi:[1,0]
	v_pk_add_f32 v[6:7], v[10:11], v[6:7] op_sel:[0,1] op_sel_hi:[1,0] neg_lo:[0,1] neg_hi:[0,1]
	v_mov_b32_e32 v3, v17
	v_pk_add_f32 v[6:7], v[6:7], v[8:9] op_sel:[0,1] op_sel_hi:[1,0]
	v_pk_add_f32 v[8:9], v[12:13], v[8:9] op_sel:[0,1] op_sel_hi:[1,0] neg_lo:[0,1] neg_hi:[0,1]
	v_mov_b32_e32 v11, v7
	v_mov_b32_e32 v10, v8
	v_mov_b32_e32 v7, v9
	v_pk_fma_f32 v[10:11], v[4:5], s[0:1], v[10:11] op_sel_hi:[1,0,1]
	v_pk_fma_f32 v[4:5], v[4:5], s[0:1], v[6:7] op_sel_hi:[1,0,1]
	;; [unrolled: 1-line block ×3, first 2 shown]
	ds_write2_b64 v1, v[10:11], v[4:5] offset0:82 offset1:187
	ds_write_b64 v38, v[2:3] offset:3360
	s_waitcnt lgkmcnt(0)
	s_barrier
	s_and_b64 exec, exec, s[6:7]
	s_cbranch_execz .LBB0_23
; %bb.22:
	global_load_dwordx2 v[10:11], v38, s[12:13]
	global_load_dwordx2 v[12:13], v38, s[12:13] offset:600
	global_load_dwordx2 v[14:15], v38, s[12:13] offset:1200
	;; [unrolled: 1-line block ×4, first 2 shown]
	ds_read_b64 v[20:21], v38
	ds_read2_b64 v[2:5], v38 offset0:75 offset1:150
	ds_read2_b64 v[6:9], v1 offset0:97 offset1:172
	global_load_dwordx2 v[28:29], v38, s[12:13] offset:3000
	global_load_dwordx2 v[30:31], v38, s[12:13] offset:3600
	v_mad_u64_u32 v[24:25], s[0:1], s10, v36, 0
	v_mad_u64_u32 v[26:27], s[2:3], s8, v37, 0
	v_mov_b32_e32 v32, v25
	v_mov_b32_e32 v34, v27
	v_mad_u64_u32 v[32:33], s[2:3], s11, v36, v[32:33]
	v_mov_b32_e32 v22, s16
	v_mov_b32_e32 v23, s17
	;; [unrolled: 3-line block ×3, first 2 shown]
	v_lshl_add_u64 v[22:23], v[24:25], 3, v[22:23]
	v_mov_b32_e32 v39, 0x258
	v_lshl_add_u64 v[22:23], v[26:27], 3, v[22:23]
	s_mul_i32 s4, s9, 0x258
	v_mad_u64_u32 v[24:25], s[2:3], s8, v39, v[22:23]
	s_mov_b32 s0, 0x859b8cec
	v_add_u32_e32 v25, s4, v25
	s_mov_b32 s1, 0x3f5f3526
	v_mad_u64_u32 v[26:27], s[2:3], s8, v39, v[24:25]
	v_add_u32_e32 v27, s4, v27
	v_mad_u64_u32 v[32:33], s[2:3], s8, v39, v[26:27]
	v_add_u32_e32 v33, s4, v33
	s_waitcnt vmcnt(6) lgkmcnt(2)
	v_mul_f32_e32 v1, v21, v11
	v_mul_f32_e32 v11, v20, v11
	s_waitcnt vmcnt(5) lgkmcnt(1)
	v_mul_f32_e32 v34, v3, v13
	v_mul_f32_e32 v13, v2, v13
	s_waitcnt vmcnt(4)
	v_mul_f32_e32 v35, v5, v15
	v_mul_f32_e32 v15, v4, v15
	s_waitcnt vmcnt(3) lgkmcnt(0)
	v_mul_f32_e32 v36, v7, v17
	v_mul_f32_e32 v17, v6, v17
	v_fmac_f32_e32 v1, v20, v10
	v_fma_f32 v10, v10, v21, -v11
	s_waitcnt vmcnt(2)
	v_mul_f32_e32 v37, v9, v19
	v_fmac_f32_e32 v34, v2, v12
	v_fma_f32 v11, v12, v3, -v13
	v_fmac_f32_e32 v35, v4, v14
	v_fma_f32 v14, v14, v5, -v15
	;; [unrolled: 2-line block ×3, first 2 shown]
	v_cvt_f64_f32_e32 v[2:3], v1
	v_cvt_f64_f32_e32 v[4:5], v10
	v_fmac_f32_e32 v37, v8, v18
	v_cvt_f64_f32_e32 v[6:7], v34
	v_cvt_f64_f32_e32 v[10:11], v11
	;; [unrolled: 1-line block ×6, first 2 shown]
	v_mul_f64 v[2:3], v[2:3], s[0:1]
	v_mul_f64 v[4:5], v[4:5], s[0:1]
	v_cvt_f64_f32_e32 v[34:35], v37
	v_mul_f64 v[6:7], v[6:7], s[0:1]
	v_mul_f64 v[10:11], v[10:11], s[0:1]
	v_mul_f64 v[12:13], v[12:13], s[0:1]
	v_mul_f64 v[14:15], v[14:15], s[0:1]
	v_mul_f64 v[16:17], v[16:17], s[0:1]
	v_mul_f64 v[20:21], v[20:21], s[0:1]
	v_cvt_f32_f64_e32 v2, v[2:3]
	v_cvt_f32_f64_e32 v3, v[4:5]
	v_mul_f32_e32 v1, v8, v19
	v_cvt_f32_f64_e32 v4, v[6:7]
	v_cvt_f32_f64_e32 v5, v[10:11]
	;; [unrolled: 1-line block ×6, first 2 shown]
	global_store_dwordx2 v[22:23], v[2:3], off
	global_store_dwordx2 v[24:25], v[4:5], off
	;; [unrolled: 1-line block ×4, first 2 shown]
	v_mul_f64 v[2:3], v[34:35], s[0:1]
	v_fma_f32 v1, v18, v9, -v1
	v_cvt_f32_f64_e32 v4, v[2:3]
	v_cvt_f64_f32_e32 v[2:3], v1
	v_mul_f64 v[2:3], v[2:3], s[0:1]
	v_cvt_f32_f64_e32 v5, v[2:3]
	ds_read2_b64 v[0:3], v0 offset0:119 offset1:194
	v_mad_u64_u32 v[6:7], s[2:3], s8, v39, v[32:33]
	v_add_u32_e32 v7, s4, v7
	global_store_dwordx2 v[6:7], v[4:5], off
	s_waitcnt vmcnt(6) lgkmcnt(0)
	v_mul_f32_e32 v4, v1, v29
	v_fmac_f32_e32 v4, v0, v28
	v_mul_f32_e32 v0, v0, v29
	v_fma_f32 v0, v28, v1, -v0
	v_cvt_f64_f32_e32 v[4:5], v4
	v_cvt_f64_f32_e32 v[0:1], v0
	v_mul_f64 v[4:5], v[4:5], s[0:1]
	v_mul_f64 v[0:1], v[0:1], s[0:1]
	v_cvt_f32_f64_e32 v4, v[4:5]
	v_cvt_f32_f64_e32 v5, v[0:1]
	v_mad_u64_u32 v[0:1], s[2:3], s8, v39, v[6:7]
	v_add_u32_e32 v1, s4, v1
	global_store_dwordx2 v[0:1], v[4:5], off
	s_waitcnt vmcnt(6)
	v_mul_f32_e32 v4, v3, v31
	v_fmac_f32_e32 v4, v2, v30
	v_mul_f32_e32 v2, v2, v31
	v_fma_f32 v2, v30, v3, -v2
	v_cvt_f64_f32_e32 v[4:5], v4
	v_cvt_f64_f32_e32 v[2:3], v2
	v_mul_f64 v[4:5], v[4:5], s[0:1]
	v_mul_f64 v[2:3], v[2:3], s[0:1]
	v_mad_u64_u32 v[0:1], s[0:1], s8, v39, v[0:1]
	v_cvt_f32_f64_e32 v4, v[4:5]
	v_cvt_f32_f64_e32 v5, v[2:3]
	v_add_u32_e32 v1, s4, v1
	global_store_dwordx2 v[0:1], v[4:5], off
.LBB0_23:
	s_endpgm
	.section	.rodata,"a",@progbits
	.p2align	6, 0x0
	.amdhsa_kernel bluestein_single_fwd_len525_dim1_sp_op_CI_CI
		.amdhsa_group_segment_fixed_size 4200
		.amdhsa_private_segment_fixed_size 0
		.amdhsa_kernarg_size 104
		.amdhsa_user_sgpr_count 2
		.amdhsa_user_sgpr_dispatch_ptr 0
		.amdhsa_user_sgpr_queue_ptr 0
		.amdhsa_user_sgpr_kernarg_segment_ptr 1
		.amdhsa_user_sgpr_dispatch_id 0
		.amdhsa_user_sgpr_kernarg_preload_length 0
		.amdhsa_user_sgpr_kernarg_preload_offset 0
		.amdhsa_user_sgpr_private_segment_size 0
		.amdhsa_uses_dynamic_stack 0
		.amdhsa_enable_private_segment 0
		.amdhsa_system_sgpr_workgroup_id_x 1
		.amdhsa_system_sgpr_workgroup_id_y 0
		.amdhsa_system_sgpr_workgroup_id_z 0
		.amdhsa_system_sgpr_workgroup_info 0
		.amdhsa_system_vgpr_workitem_id 0
		.amdhsa_next_free_vgpr 80
		.amdhsa_next_free_sgpr 24
		.amdhsa_accum_offset 80
		.amdhsa_reserve_vcc 1
		.amdhsa_float_round_mode_32 0
		.amdhsa_float_round_mode_16_64 0
		.amdhsa_float_denorm_mode_32 3
		.amdhsa_float_denorm_mode_16_64 3
		.amdhsa_dx10_clamp 1
		.amdhsa_ieee_mode 1
		.amdhsa_fp16_overflow 0
		.amdhsa_tg_split 0
		.amdhsa_exception_fp_ieee_invalid_op 0
		.amdhsa_exception_fp_denorm_src 0
		.amdhsa_exception_fp_ieee_div_zero 0
		.amdhsa_exception_fp_ieee_overflow 0
		.amdhsa_exception_fp_ieee_underflow 0
		.amdhsa_exception_fp_ieee_inexact 0
		.amdhsa_exception_int_div_zero 0
	.end_amdhsa_kernel
	.text
.Lfunc_end0:
	.size	bluestein_single_fwd_len525_dim1_sp_op_CI_CI, .Lfunc_end0-bluestein_single_fwd_len525_dim1_sp_op_CI_CI
                                        ; -- End function
	.section	.AMDGPU.csdata,"",@progbits
; Kernel info:
; codeLenInByte = 6228
; NumSgprs: 30
; NumVgprs: 80
; NumAgprs: 0
; TotalNumVgprs: 80
; ScratchSize: 0
; MemoryBound: 0
; FloatMode: 240
; IeeeMode: 1
; LDSByteSize: 4200 bytes/workgroup (compile time only)
; SGPRBlocks: 3
; VGPRBlocks: 9
; NumSGPRsForWavesPerEU: 30
; NumVGPRsForWavesPerEU: 80
; AccumOffset: 80
; Occupancy: 6
; WaveLimiterHint : 1
; COMPUTE_PGM_RSRC2:SCRATCH_EN: 0
; COMPUTE_PGM_RSRC2:USER_SGPR: 2
; COMPUTE_PGM_RSRC2:TRAP_HANDLER: 0
; COMPUTE_PGM_RSRC2:TGID_X_EN: 1
; COMPUTE_PGM_RSRC2:TGID_Y_EN: 0
; COMPUTE_PGM_RSRC2:TGID_Z_EN: 0
; COMPUTE_PGM_RSRC2:TIDIG_COMP_CNT: 0
; COMPUTE_PGM_RSRC3_GFX90A:ACCUM_OFFSET: 19
; COMPUTE_PGM_RSRC3_GFX90A:TG_SPLIT: 0
	.text
	.p2alignl 6, 3212836864
	.fill 256, 4, 3212836864
	.type	__hip_cuid_2be41284b0719768,@object ; @__hip_cuid_2be41284b0719768
	.section	.bss,"aw",@nobits
	.globl	__hip_cuid_2be41284b0719768
__hip_cuid_2be41284b0719768:
	.byte	0                               ; 0x0
	.size	__hip_cuid_2be41284b0719768, 1

	.ident	"AMD clang version 19.0.0git (https://github.com/RadeonOpenCompute/llvm-project roc-6.4.0 25133 c7fe45cf4b819c5991fe208aaa96edf142730f1d)"
	.section	".note.GNU-stack","",@progbits
	.addrsig
	.addrsig_sym __hip_cuid_2be41284b0719768
	.amdgpu_metadata
---
amdhsa.kernels:
  - .agpr_count:     0
    .args:
      - .actual_access:  read_only
        .address_space:  global
        .offset:         0
        .size:           8
        .value_kind:     global_buffer
      - .actual_access:  read_only
        .address_space:  global
        .offset:         8
        .size:           8
        .value_kind:     global_buffer
      - .actual_access:  read_only
        .address_space:  global
        .offset:         16
        .size:           8
        .value_kind:     global_buffer
      - .actual_access:  read_only
        .address_space:  global
        .offset:         24
        .size:           8
        .value_kind:     global_buffer
      - .actual_access:  read_only
        .address_space:  global
        .offset:         32
        .size:           8
        .value_kind:     global_buffer
      - .offset:         40
        .size:           8
        .value_kind:     by_value
      - .address_space:  global
        .offset:         48
        .size:           8
        .value_kind:     global_buffer
      - .address_space:  global
        .offset:         56
        .size:           8
        .value_kind:     global_buffer
      - .address_space:  global
        .offset:         64
        .size:           8
        .value_kind:     global_buffer
      - .address_space:  global
        .offset:         72
        .size:           8
        .value_kind:     global_buffer
      - .offset:         80
        .size:           4
        .value_kind:     by_value
      - .address_space:  global
        .offset:         88
        .size:           8
        .value_kind:     global_buffer
      - .address_space:  global
        .offset:         96
        .size:           8
        .value_kind:     global_buffer
    .group_segment_fixed_size: 4200
    .kernarg_segment_align: 8
    .kernarg_segment_size: 104
    .language:       OpenCL C
    .language_version:
      - 2
      - 0
    .max_flat_workgroup_size: 105
    .name:           bluestein_single_fwd_len525_dim1_sp_op_CI_CI
    .private_segment_fixed_size: 0
    .sgpr_count:     30
    .sgpr_spill_count: 0
    .symbol:         bluestein_single_fwd_len525_dim1_sp_op_CI_CI.kd
    .uniform_work_group_size: 1
    .uses_dynamic_stack: false
    .vgpr_count:     80
    .vgpr_spill_count: 0
    .wavefront_size: 64
amdhsa.target:   amdgcn-amd-amdhsa--gfx950
amdhsa.version:
  - 1
  - 2
...

	.end_amdgpu_metadata
